;; amdgpu-corpus repo=ROCm/rocFFT kind=compiled arch=gfx1030 opt=O3
	.text
	.amdgcn_target "amdgcn-amd-amdhsa--gfx1030"
	.amdhsa_code_object_version 6
	.protected	fft_rtc_back_len484_factors_4_11_11_wgs_44_tpt_44_half_op_CI_CI_unitstride_sbrr_R2C_dirReg ; -- Begin function fft_rtc_back_len484_factors_4_11_11_wgs_44_tpt_44_half_op_CI_CI_unitstride_sbrr_R2C_dirReg
	.globl	fft_rtc_back_len484_factors_4_11_11_wgs_44_tpt_44_half_op_CI_CI_unitstride_sbrr_R2C_dirReg
	.p2align	8
	.type	fft_rtc_back_len484_factors_4_11_11_wgs_44_tpt_44_half_op_CI_CI_unitstride_sbrr_R2C_dirReg,@function
fft_rtc_back_len484_factors_4_11_11_wgs_44_tpt_44_half_op_CI_CI_unitstride_sbrr_R2C_dirReg: ; @fft_rtc_back_len484_factors_4_11_11_wgs_44_tpt_44_half_op_CI_CI_unitstride_sbrr_R2C_dirReg
; %bb.0:
	s_clause 0x2
	s_load_dwordx4 s[12:15], s[4:5], 0x0
	s_load_dwordx4 s[8:11], s[4:5], 0x58
	;; [unrolled: 1-line block ×3, first 2 shown]
	v_mul_u32_u24_e32 v1, 0x5d2, v0
	v_mov_b32_e32 v3, 0
	v_mov_b32_e32 v10, 0
	;; [unrolled: 1-line block ×3, first 2 shown]
	v_add_nc_u32_sdwa v7, s6, v1 dst_sel:DWORD dst_unused:UNUSED_PAD src0_sel:DWORD src1_sel:WORD_1
	v_mov_b32_e32 v8, v3
	s_waitcnt lgkmcnt(0)
	v_cmp_lt_u64_e64 s0, s[14:15], 2
	s_and_b32 vcc_lo, exec_lo, s0
	s_cbranch_vccnz .LBB0_8
; %bb.1:
	s_load_dwordx2 s[0:1], s[4:5], 0x10
	v_mov_b32_e32 v10, 0
	v_mov_b32_e32 v11, 0
	s_add_u32 s2, s18, 8
	s_addc_u32 s3, s19, 0
	v_mov_b32_e32 v1, v10
	s_add_u32 s6, s16, 8
	v_mov_b32_e32 v2, v11
	s_addc_u32 s7, s17, 0
	s_mov_b64 s[22:23], 1
	s_waitcnt lgkmcnt(0)
	s_add_u32 s20, s0, 8
	s_addc_u32 s21, s1, 0
.LBB0_2:                                ; =>This Inner Loop Header: Depth=1
	s_load_dwordx2 s[24:25], s[20:21], 0x0
                                        ; implicit-def: $vgpr5_vgpr6
	s_mov_b32 s0, exec_lo
	s_waitcnt lgkmcnt(0)
	v_or_b32_e32 v4, s25, v8
	v_cmpx_ne_u64_e32 0, v[3:4]
	s_xor_b32 s1, exec_lo, s0
	s_cbranch_execz .LBB0_4
; %bb.3:                                ;   in Loop: Header=BB0_2 Depth=1
	v_cvt_f32_u32_e32 v4, s24
	v_cvt_f32_u32_e32 v5, s25
	s_sub_u32 s0, 0, s24
	s_subb_u32 s26, 0, s25
	v_fmac_f32_e32 v4, 0x4f800000, v5
	v_rcp_f32_e32 v4, v4
	v_mul_f32_e32 v4, 0x5f7ffffc, v4
	v_mul_f32_e32 v5, 0x2f800000, v4
	v_trunc_f32_e32 v5, v5
	v_fmac_f32_e32 v4, 0xcf800000, v5
	v_cvt_u32_f32_e32 v5, v5
	v_cvt_u32_f32_e32 v4, v4
	v_mul_lo_u32 v6, s0, v5
	v_mul_hi_u32 v9, s0, v4
	v_mul_lo_u32 v12, s26, v4
	v_add_nc_u32_e32 v6, v9, v6
	v_mul_lo_u32 v9, s0, v4
	v_add_nc_u32_e32 v6, v6, v12
	v_mul_hi_u32 v12, v4, v9
	v_mul_lo_u32 v13, v4, v6
	v_mul_hi_u32 v14, v4, v6
	v_mul_hi_u32 v15, v5, v9
	v_mul_lo_u32 v9, v5, v9
	v_mul_hi_u32 v16, v5, v6
	v_mul_lo_u32 v6, v5, v6
	v_add_co_u32 v12, vcc_lo, v12, v13
	v_add_co_ci_u32_e32 v13, vcc_lo, 0, v14, vcc_lo
	v_add_co_u32 v9, vcc_lo, v12, v9
	v_add_co_ci_u32_e32 v9, vcc_lo, v13, v15, vcc_lo
	v_add_co_ci_u32_e32 v12, vcc_lo, 0, v16, vcc_lo
	v_add_co_u32 v6, vcc_lo, v9, v6
	v_add_co_ci_u32_e32 v9, vcc_lo, 0, v12, vcc_lo
	v_add_co_u32 v4, vcc_lo, v4, v6
	v_add_co_ci_u32_e32 v5, vcc_lo, v5, v9, vcc_lo
	v_mul_hi_u32 v6, s0, v4
	v_mul_lo_u32 v12, s26, v4
	v_mul_lo_u32 v9, s0, v5
	v_add_nc_u32_e32 v6, v6, v9
	v_mul_lo_u32 v9, s0, v4
	v_add_nc_u32_e32 v6, v6, v12
	v_mul_hi_u32 v12, v4, v9
	v_mul_lo_u32 v13, v4, v6
	v_mul_hi_u32 v14, v4, v6
	v_mul_hi_u32 v15, v5, v9
	v_mul_lo_u32 v9, v5, v9
	v_mul_hi_u32 v16, v5, v6
	v_mul_lo_u32 v6, v5, v6
	v_add_co_u32 v12, vcc_lo, v12, v13
	v_add_co_ci_u32_e32 v13, vcc_lo, 0, v14, vcc_lo
	v_add_co_u32 v9, vcc_lo, v12, v9
	v_add_co_ci_u32_e32 v9, vcc_lo, v13, v15, vcc_lo
	v_add_co_ci_u32_e32 v12, vcc_lo, 0, v16, vcc_lo
	v_add_co_u32 v6, vcc_lo, v9, v6
	v_add_co_ci_u32_e32 v9, vcc_lo, 0, v12, vcc_lo
	v_add_co_u32 v6, vcc_lo, v4, v6
	v_add_co_ci_u32_e32 v9, vcc_lo, v5, v9, vcc_lo
	v_mul_hi_u32 v16, v7, v6
	v_mad_u64_u32 v[12:13], null, v8, v6, 0
	v_mad_u64_u32 v[4:5], null, v7, v9, 0
	;; [unrolled: 1-line block ×3, first 2 shown]
	v_add_co_u32 v4, vcc_lo, v16, v4
	v_add_co_ci_u32_e32 v5, vcc_lo, 0, v5, vcc_lo
	v_add_co_u32 v4, vcc_lo, v4, v12
	v_add_co_ci_u32_e32 v4, vcc_lo, v5, v13, vcc_lo
	v_add_co_ci_u32_e32 v5, vcc_lo, 0, v15, vcc_lo
	v_add_co_u32 v9, vcc_lo, v4, v14
	v_add_co_ci_u32_e32 v6, vcc_lo, 0, v5, vcc_lo
	v_mul_lo_u32 v12, s25, v9
	v_mad_u64_u32 v[4:5], null, s24, v9, 0
	v_mul_lo_u32 v13, s24, v6
	v_sub_co_u32 v4, vcc_lo, v7, v4
	v_add3_u32 v5, v5, v13, v12
	v_sub_nc_u32_e32 v12, v8, v5
	v_subrev_co_ci_u32_e64 v12, s0, s25, v12, vcc_lo
	v_add_co_u32 v13, s0, v9, 2
	v_add_co_ci_u32_e64 v14, s0, 0, v6, s0
	v_sub_co_u32 v15, s0, v4, s24
	v_sub_co_ci_u32_e32 v5, vcc_lo, v8, v5, vcc_lo
	v_subrev_co_ci_u32_e64 v12, s0, 0, v12, s0
	v_cmp_le_u32_e32 vcc_lo, s24, v15
	v_cmp_eq_u32_e64 s0, s25, v5
	v_cndmask_b32_e64 v15, 0, -1, vcc_lo
	v_cmp_le_u32_e32 vcc_lo, s25, v12
	v_cndmask_b32_e64 v16, 0, -1, vcc_lo
	v_cmp_le_u32_e32 vcc_lo, s24, v4
	;; [unrolled: 2-line block ×3, first 2 shown]
	v_cndmask_b32_e64 v17, 0, -1, vcc_lo
	v_cmp_eq_u32_e32 vcc_lo, s25, v12
	v_cndmask_b32_e64 v4, v17, v4, s0
	v_cndmask_b32_e32 v12, v16, v15, vcc_lo
	v_add_co_u32 v15, vcc_lo, v9, 1
	v_add_co_ci_u32_e32 v16, vcc_lo, 0, v6, vcc_lo
	v_cmp_ne_u32_e32 vcc_lo, 0, v12
	v_cndmask_b32_e32 v5, v16, v14, vcc_lo
	v_cndmask_b32_e32 v12, v15, v13, vcc_lo
	v_cmp_ne_u32_e32 vcc_lo, 0, v4
	v_cndmask_b32_e32 v6, v6, v5, vcc_lo
	v_cndmask_b32_e32 v5, v9, v12, vcc_lo
.LBB0_4:                                ;   in Loop: Header=BB0_2 Depth=1
	s_andn2_saveexec_b32 s0, s1
	s_cbranch_execz .LBB0_6
; %bb.5:                                ;   in Loop: Header=BB0_2 Depth=1
	v_cvt_f32_u32_e32 v4, s24
	s_sub_i32 s1, 0, s24
	v_rcp_iflag_f32_e32 v4, v4
	v_mul_f32_e32 v4, 0x4f7ffffe, v4
	v_cvt_u32_f32_e32 v4, v4
	v_mul_lo_u32 v5, s1, v4
	v_mul_hi_u32 v5, v4, v5
	v_add_nc_u32_e32 v4, v4, v5
	v_mul_hi_u32 v4, v7, v4
	v_mul_lo_u32 v5, v4, s24
	v_add_nc_u32_e32 v6, 1, v4
	v_sub_nc_u32_e32 v5, v7, v5
	v_subrev_nc_u32_e32 v9, s24, v5
	v_cmp_le_u32_e32 vcc_lo, s24, v5
	v_cndmask_b32_e32 v5, v5, v9, vcc_lo
	v_cndmask_b32_e32 v4, v4, v6, vcc_lo
	v_cmp_le_u32_e32 vcc_lo, s24, v5
	v_add_nc_u32_e32 v6, 1, v4
	v_cndmask_b32_e32 v5, v4, v6, vcc_lo
	v_mov_b32_e32 v6, v3
.LBB0_6:                                ;   in Loop: Header=BB0_2 Depth=1
	s_or_b32 exec_lo, exec_lo, s0
	v_mul_lo_u32 v4, v6, s24
	v_mul_lo_u32 v9, v5, s25
	s_load_dwordx2 s[0:1], s[6:7], 0x0
	v_mad_u64_u32 v[12:13], null, v5, s24, 0
	s_load_dwordx2 s[24:25], s[2:3], 0x0
	s_add_u32 s22, s22, 1
	s_addc_u32 s23, s23, 0
	s_add_u32 s2, s2, 8
	s_addc_u32 s3, s3, 0
	s_add_u32 s6, s6, 8
	v_add3_u32 v4, v13, v9, v4
	v_sub_co_u32 v7, vcc_lo, v7, v12
	s_addc_u32 s7, s7, 0
	s_add_u32 s20, s20, 8
	v_sub_co_ci_u32_e32 v4, vcc_lo, v8, v4, vcc_lo
	s_addc_u32 s21, s21, 0
	s_waitcnt lgkmcnt(0)
	v_mul_lo_u32 v8, s0, v4
	v_mul_lo_u32 v9, s1, v7
	v_mad_u64_u32 v[10:11], null, s0, v7, v[10:11]
	v_mul_lo_u32 v4, s24, v4
	v_mul_lo_u32 v12, s25, v7
	v_mad_u64_u32 v[1:2], null, s24, v7, v[1:2]
	v_cmp_ge_u64_e64 s0, s[22:23], s[14:15]
	v_add3_u32 v11, v9, v11, v8
	v_add3_u32 v2, v12, v2, v4
	s_and_b32 vcc_lo, exec_lo, s0
	s_cbranch_vccnz .LBB0_9
; %bb.7:                                ;   in Loop: Header=BB0_2 Depth=1
	v_mov_b32_e32 v8, v6
	v_mov_b32_e32 v7, v5
	s_branch .LBB0_2
.LBB0_8:
	v_mov_b32_e32 v1, v10
	v_mov_b32_e32 v5, v7
	;; [unrolled: 1-line block ×4, first 2 shown]
.LBB0_9:
	s_load_dwordx2 s[0:1], s[4:5], 0x28
	v_mul_hi_u32 v4, 0x5d1745e, v0
	s_lshl_b64 s[4:5], s[14:15], 3
                                        ; implicit-def: $vgpr3
                                        ; implicit-def: $vgpr7
                                        ; implicit-def: $vgpr9
	s_add_u32 s2, s18, s4
	s_addc_u32 s3, s19, s5
	s_waitcnt lgkmcnt(0)
	v_cmp_gt_u64_e32 vcc_lo, s[0:1], v[5:6]
	v_cmp_le_u64_e64 s0, s[0:1], v[5:6]
	s_and_saveexec_b32 s1, s0
	s_xor_b32 s0, exec_lo, s1
; %bb.10:
	v_mul_u32_u24_e32 v3, 44, v4
                                        ; implicit-def: $vgpr4
                                        ; implicit-def: $vgpr10_vgpr11
	v_sub_nc_u32_e32 v3, v0, v3
                                        ; implicit-def: $vgpr0
	v_add_nc_u32_e32 v7, 44, v3
	v_add_nc_u32_e32 v9, 0x58, v3
; %bb.11:
	s_andn2_saveexec_b32 s1, s0
	s_cbranch_execz .LBB0_13
; %bb.12:
	s_add_u32 s4, s16, s4
	s_addc_u32 s5, s17, s5
	s_load_dwordx2 s[4:5], s[4:5], 0x0
	s_waitcnt lgkmcnt(0)
	v_mul_lo_u32 v3, s5, v5
	v_mul_lo_u32 v9, s4, v6
	v_mad_u64_u32 v[7:8], null, s4, v5, 0
	v_add3_u32 v8, v8, v9, v3
	v_mul_u32_u24_e32 v3, 44, v4
	v_lshlrev_b64 v[9:10], 2, v[10:11]
	v_lshlrev_b64 v[7:8], 2, v[7:8]
	v_sub_nc_u32_e32 v3, v0, v3
	v_lshlrev_b32_e32 v11, 2, v3
	v_add_co_u32 v0, s0, s8, v7
	v_add_co_ci_u32_e64 v4, s0, s9, v8, s0
	v_add_co_u32 v0, s0, v0, v9
	v_add_co_ci_u32_e64 v4, s0, v4, v10, s0
	v_add_nc_u32_e32 v9, 0x58, v3
	v_add_co_u32 v7, s0, v0, v11
	v_add_co_ci_u32_e64 v8, s0, 0, v4, s0
	s_clause 0xa
	global_load_dword v0, v[7:8], off
	global_load_dword v4, v[7:8], off offset:176
	global_load_dword v10, v[7:8], off offset:352
	;; [unrolled: 1-line block ×10, first 2 shown]
	v_add_nc_u32_e32 v11, 0, v11
	v_add_nc_u32_e32 v7, 44, v3
	;; [unrolled: 1-line block ×3, first 2 shown]
	s_waitcnt vmcnt(9)
	ds_write2_b32 v11, v0, v4 offset1:44
	s_waitcnt vmcnt(7)
	ds_write2_b32 v11, v10, v12 offset0:88 offset1:132
	s_waitcnt vmcnt(5)
	ds_write2_b32 v11, v13, v14 offset0:176 offset1:220
	;; [unrolled: 2-line block ×4, first 2 shown]
	s_waitcnt vmcnt(0)
	ds_write_b32 v11, v8 offset:1760
.LBB0_13:
	s_or_b32 exec_lo, exec_lo, s1
	v_lshl_add_u32 v0, v3, 2, 0
	s_load_dwordx2 s[2:3], s[2:3], 0x0
	s_waitcnt lgkmcnt(0)
	s_barrier
	buffer_gl0_inv
	v_add_nc_u32_e32 v8, 0x200, v0
	v_add_nc_u32_e32 v4, 0x400, v0
	v_cmp_gt_u32_e64 s0, 33, v3
	ds_read2_b32 v[19:20], v0 offset1:44
	ds_read2_b32 v[10:11], v0 offset0:88 offset1:121
	ds_read2_b32 v[21:22], v8 offset0:114 offset1:158
	;; [unrolled: 1-line block ×5, first 2 shown]
	v_lshl_add_u32 v18, v7, 4, 0
	s_waitcnt lgkmcnt(0)
	s_barrier
	buffer_gl0_inv
	v_pk_add_f16 v8, v19, v21 neg_lo:[0,1] neg_hi:[0,1]
	v_pk_add_f16 v15, v11, v15 neg_lo:[0,1] neg_hi:[0,1]
	;; [unrolled: 1-line block ×4, first 2 shown]
	v_mad_u32_u24 v22, v3, 12, v0
	v_pk_fma_f16 v19, v19, 2.0, v8 op_sel_hi:[1,0,1] neg_lo:[0,0,1] neg_hi:[0,0,1]
	v_pk_fma_f16 v11, v11, 2.0, v15 op_sel_hi:[1,0,1] neg_lo:[0,0,1] neg_hi:[0,0,1]
	v_alignbit_b32 v25, s0, v21, 16
	v_alignbit_b32 v23, s0, v16, 16
	v_pk_add_f16 v28, v8, v15 op_sel:[0,1] op_sel_hi:[1,0]
	v_lshrrev_b32_e32 v26, 16, v19
	v_pk_add_f16 v11, v19, v11 neg_lo:[0,1] neg_hi:[0,1]
	v_pk_add_f16 v15, v8, v15 op_sel:[0,1] op_sel_hi:[1,0] neg_lo:[0,1] neg_hi:[0,1]
	v_pk_fma_f16 v20, v20, 2.0, v21 op_sel_hi:[1,0,1] neg_lo:[0,0,1] neg_hi:[0,0,1]
	v_pk_fma_f16 v12, v12, 2.0, v16 op_sel_hi:[1,0,1] neg_lo:[0,0,1] neg_hi:[0,0,1]
	v_lshrrev_b32_e32 v24, 16, v21
	v_lshrrev_b32_e32 v27, 16, v11
	v_pk_add_f16 v23, v21, v23
	v_pk_add_f16 v16, v25, v16 neg_lo:[0,1] neg_hi:[0,1]
	v_bfi_b32 v15, 0xffff, v28, v15
	v_fma_f16 v19, v19, 2.0, -v11
	v_fma_f16 v26, v26, 2.0, -v27
	v_pk_add_f16 v12, v20, v12 neg_lo:[0,1] neg_hi:[0,1]
	v_fma_f16 v21, v21, 2.0, -v23
	v_fma_f16 v24, v24, 2.0, -v16
	v_pk_fma_f16 v8, v8, 2.0, v15 op_sel_hi:[1,0,1] neg_lo:[0,0,1] neg_hi:[0,0,1]
	v_lshlrev_b32_e32 v25, 16, v26
	v_pk_fma_f16 v20, v20, 2.0, v12 op_sel_hi:[1,0,1] neg_lo:[0,0,1] neg_hi:[0,0,1]
	v_pack_b32_f16 v16, v23, v16
	v_pack_b32_f16 v21, v21, v24
	v_or_b32_sdwa v19, v25, v19 dst_sel:DWORD dst_unused:UNUSED_PAD src0_sel:DWORD src1_sel:WORD_0
	ds_write2_b32 v22, v8, v11 offset0:1 offset1:2
	ds_write2_b32 v22, v19, v15 offset1:3
	ds_write2_b32 v18, v20, v21 offset1:1
	ds_write2_b32 v18, v12, v16 offset0:2 offset1:3
	s_and_saveexec_b32 s1, s0
	s_cbranch_execz .LBB0_15
; %bb.14:
	v_pk_add_f16 v8, v13, v17 neg_lo:[0,1] neg_hi:[0,1]
	v_pk_add_f16 v11, v10, v14 neg_lo:[0,1] neg_hi:[0,1]
	v_alignbit_b32 v12, s0, v8, 16
	v_alignbit_b32 v14, s0, v11, 16
	v_lshrrev_b32_e32 v15, 16, v11
	v_pk_fma_f16 v10, v10, 2.0, v11 op_sel_hi:[1,0,1] neg_lo:[0,0,1] neg_hi:[0,0,1]
	v_pk_fma_f16 v13, v13, 2.0, v8 op_sel_hi:[1,0,1] neg_lo:[0,0,1] neg_hi:[0,0,1]
	v_pk_add_f16 v12, v11, v12
	v_pk_add_f16 v8, v14, v8 neg_lo:[0,1] neg_hi:[0,1]
	v_pk_add_f16 v13, v10, v13 neg_lo:[0,1] neg_hi:[0,1]
	v_fma_f16 v11, v11, 2.0, -v12
	v_fma_f16 v14, v15, 2.0, -v8
	v_lshl_add_u32 v15, v9, 4, 0
	v_pack_b32_f16 v8, v12, v8
	v_pk_fma_f16 v10, v10, 2.0, v13 op_sel_hi:[1,0,1] neg_lo:[0,0,1] neg_hi:[0,0,1]
	v_pack_b32_f16 v11, v11, v14
	ds_write2_b32 v15, v10, v11 offset1:1
	ds_write2_b32 v15, v13, v8 offset0:2 offset1:3
.LBB0_15:
	s_or_b32 exec_lo, exec_lo, s1
	v_and_b32_e32 v12, 3, v3
	s_waitcnt lgkmcnt(0)
	s_barrier
	buffer_gl0_inv
	v_lshl_add_u32 v13, v9, 2, 0
	v_mul_u32_u24_e32 v8, 10, v12
	v_lshrrev_b32_e32 v14, 2, v3
	s_mov_b32 s1, exec_lo
	v_lshlrev_b32_e32 v8, 2, v8
	v_mul_u32_u24_e32 v14, 44, v14
	s_clause 0x2
	global_load_dwordx4 v[26:29], v8, s[12:13]
	global_load_dwordx4 v[30:33], v8, s[12:13] offset:16
	global_load_dwordx2 v[34:35], v8, s[12:13] offset:32
	v_mad_i32_i24 v8, v7, -12, v18
	ds_read2_b32 v[36:37], v4 offset0:8 offset1:52
	ds_read2_b32 v[38:39], v4 offset0:96 offset1:140
	ds_read2_b32 v[10:11], v0 offset1:132
	ds_read_b32 v16, v8
	ds_read2_b32 v[22:23], v0 offset0:176 offset1:220
	ds_read_b32 v19, v13
	ds_read_b32 v40, v0 offset:1760
	v_or_b32_e32 v20, v14, v12
	s_waitcnt vmcnt(0) lgkmcnt(0)
	s_barrier
	buffer_gl0_inv
	v_lshl_add_u32 v20, v20, 2, 0
	v_lshrrev_b32_e32 v43, 16, v38
	v_lshrrev_b32_e32 v45, 16, v11
	;; [unrolled: 1-line block ×10, first 2 shown]
	v_mul_f16_sdwa v51, v26, v46 dst_sel:DWORD dst_unused:UNUSED_PAD src0_sel:WORD_1 src1_sel:DWORD
	v_mul_f16_sdwa v52, v26, v16 dst_sel:DWORD dst_unused:UNUSED_PAD src0_sel:WORD_1 src1_sel:DWORD
	;; [unrolled: 1-line block ×6, first 2 shown]
	v_mul_f16_sdwa v21, v41, v31 dst_sel:DWORD dst_unused:UNUSED_PAD src0_sel:DWORD src1_sel:WORD_1
	v_mul_f16_sdwa v59, v36, v31 dst_sel:DWORD dst_unused:UNUSED_PAD src0_sel:DWORD src1_sel:WORD_1
	;; [unrolled: 1-line block ×5, first 2 shown]
	v_fmac_f16_e32 v51, v26, v16
	v_fma_f16 v26, v26, v46, -v52
	v_mul_f16_sdwa v55, v28, v45 dst_sel:DWORD dst_unused:UNUSED_PAD src0_sel:WORD_1 src1_sel:DWORD
	v_mul_f16_sdwa v63, v40, v35 dst_sel:DWORD dst_unused:UNUSED_PAD src0_sel:DWORD src1_sel:WORD_1
	v_mul_f16_sdwa v56, v28, v11 dst_sel:DWORD dst_unused:UNUSED_PAD src0_sel:WORD_1 src1_sel:DWORD
	v_mul_f16_sdwa v57, v29, v22 dst_sel:DWORD dst_unused:UNUSED_PAD src0_sel:WORD_1 src1_sel:DWORD
	;; [unrolled: 1-line block ×3, first 2 shown]
	v_mul_f16_sdwa v15, v43, v33 dst_sel:DWORD dst_unused:UNUSED_PAD src0_sel:DWORD src1_sel:WORD_1
	v_mul_f16_sdwa v61, v38, v33 dst_sel:DWORD dst_unused:UNUSED_PAD src0_sel:DWORD src1_sel:WORD_1
	v_fmac_f16_e32 v53, v27, v19
	v_fma_f16 v27, v27, v48, -v54
	v_fmac_f16_e32 v25, v29, v22
	v_fmac_f16_e32 v24, v30, v23
	;; [unrolled: 1-line block ×3, first 2 shown]
	v_fma_f16 v23, v41, v31, -v59
	v_fmac_f16_e32 v17, v37, v32
	v_fma_f16 v22, v42, v32, -v60
	v_fma_f16 v16, v44, v34, -v62
	v_add_f16_e32 v31, v51, v10
	v_add_f16_sdwa v32, v26, v10 dst_sel:DWORD dst_unused:UNUSED_PAD src0_sel:DWORD src1_sel:WORD_1
	v_mul_f16_sdwa v14, v44, v34 dst_sel:DWORD dst_unused:UNUSED_PAD src0_sel:DWORD src1_sel:WORD_1
	v_mul_f16_sdwa v12, v50, v35 dst_sel:DWORD dst_unused:UNUSED_PAD src0_sel:DWORD src1_sel:WORD_1
	v_fmac_f16_e32 v55, v28, v11
	v_fma_f16 v11, v50, v35, -v63
	v_fma_f16 v28, v28, v45, -v56
	v_fmac_f16_e32 v15, v38, v33
	v_fma_f16 v19, v43, v33, -v61
	v_sub_f16_e32 v37, v27, v16
	v_add_f16_e32 v38, v27, v16
	v_add_f16_e32 v27, v32, v27
	;; [unrolled: 1-line block ×3, first 2 shown]
	v_fma_f16 v29, v29, v47, -v57
	v_fma_f16 v30, v30, v49, -v58
	v_fmac_f16_e32 v14, v39, v34
	v_fmac_f16_e32 v12, v40, v35
	v_sub_f16_e32 v34, v26, v11
	v_add_f16_e32 v26, v26, v11
	v_sub_f16_e32 v40, v28, v19
	v_add_f16_e32 v42, v28, v19
	v_add_f16_e32 v27, v27, v28
	;; [unrolled: 1-line block ×4, first 2 shown]
	v_sub_f16_e32 v35, v51, v12
	v_sub_f16_e32 v44, v29, v22
	v_add_f16_e32 v46, v29, v22
	v_sub_f16_e32 v48, v30, v23
	v_mul_f16_e32 v52, 0xb853, v34
	v_mul_f16_e32 v54, 0x3abb, v26
	;; [unrolled: 1-line block ×10, first 2 shown]
	v_add_f16_e32 v45, v25, v17
	v_sub_f16_e32 v47, v25, v17
	v_add_f16_e32 v25, v28, v25
	v_add_f16_e32 v27, v27, v29
	;; [unrolled: 1-line block ×3, first 2 shown]
	v_sub_f16_e32 v39, v53, v14
	v_add_f16_e32 v41, v55, v15
	v_sub_f16_e32 v43, v55, v15
	v_add_f16_e32 v49, v24, v21
	v_add_f16_e32 v50, v30, v23
	v_mul_f16_e32 v62, 0xbb47, v37
	v_mul_f16_e32 v63, 0xba0c, v37
	v_mul_f16_e32 v64, 0x3482, v37
	v_mul_f16_e32 v65, 0x3beb, v37
	v_mul_f16_e32 v37, 0x3853, v37
	v_mul_f16_e32 v32, 0x36a6, v38
	v_mul_f16_e32 v53, 0xb93d, v38
	v_mul_f16_e32 v66, 0xbbad, v38
	v_mul_f16_e32 v67, 0xb08e, v38
	v_mul_f16_e32 v38, 0x3abb, v38
	v_mul_f16_e32 v68, 0xbbeb, v40
	v_mul_f16_e32 v69, 0x3482, v40
	v_mul_f16_e32 v70, 0x3b47, v40
	v_mul_f16_e32 v71, 0xb853, v40
	v_mul_f16_e32 v40, 0xba0c, v40
	v_mul_f16_e32 v72, 0xb08e, v42
	v_mul_f16_e32 v73, 0xbbad, v42
	v_mul_f16_e32 v74, 0x36a6, v42
	v_mul_f16_e32 v75, 0x3abb, v42
	v_mul_f16_e32 v42, 0xb93d, v42
	v_mul_f16_e32 v76, 0xba0c, v44
	v_mul_f16_e32 v77, 0x3beb, v44
	v_mul_f16_e32 v78, 0xb853, v44
	v_mul_f16_e32 v79, 0xb482, v44
	v_mul_f16_e32 v44, 0x3b47, v44
	v_mul_f16_e32 v80, 0xb93d, v46
	v_mul_f16_e32 v81, 0xb08e, v46
	v_mul_f16_e32 v82, 0x3abb, v46
	v_mul_f16_e32 v83, 0xbbad, v46
	v_mul_f16_e32 v46, 0x36a6, v46
	v_mul_f16_e32 v84, 0xb482, v48
	v_mul_f16_e32 v85, 0x3853, v48
	v_mul_f16_e32 v86, 0xba0c, v48
	v_mul_f16_e32 v87, 0x3b47, v48
	v_mul_f16_e32 v48, 0xbbeb, v48
	v_fmamk_f16 v91, v33, 0x3abb, v52
	v_fmamk_f16 v92, v35, 0x3853, v54
	v_fma_f16 v52, v33, 0x3abb, -v52
	v_fmac_f16_e32 v54, 0xb853, v35
	v_fmamk_f16 v93, v33, 0x36a6, v56
	v_fmamk_f16 v94, v35, 0x3b47, v57
	v_fma_f16 v56, v33, 0x36a6, -v56
	v_fmac_f16_e32 v57, 0xbb47, v35
	;; [unrolled: 4-line block ×4, first 2 shown]
	v_fmamk_f16 v99, v33, 0xbbad, v34
	v_fma_f16 v33, v33, 0xbbad, -v34
	v_fmamk_f16 v34, v35, 0x3482, v26
	v_fmac_f16_e32 v26, 0xb482, v35
	v_sub_f16_e32 v51, v24, v21
	v_add_f16_e32 v24, v25, v24
	v_add_f16_e32 v25, v27, v30
	v_mul_f16_e32 v88, 0xbbad, v50
	v_mul_f16_e32 v89, 0x3abb, v50
	;; [unrolled: 1-line block ×3, first 2 shown]
	v_fmamk_f16 v35, v36, 0x36a6, v62
	v_fma_f16 v62, v36, 0x36a6, -v62
	v_fmamk_f16 v100, v36, 0xb93d, v63
	v_fma_f16 v63, v36, 0xb93d, -v63
	v_fmamk_f16 v101, v36, 0xbbad, v64
	v_fma_f16 v64, v36, 0xbbad, -v64
	v_fmamk_f16 v102, v36, 0xb08e, v65
	v_fma_f16 v65, v36, 0xb08e, -v65
	v_fmamk_f16 v103, v36, 0x3abb, v37
	v_fma_f16 v36, v36, 0x3abb, -v37
	v_fmamk_f16 v37, v39, 0x3b47, v32
	v_fmac_f16_e32 v32, 0xbb47, v39
	v_fmamk_f16 v104, v39, 0x3a0c, v53
	v_fmac_f16_e32 v53, 0xba0c, v39
	v_fmamk_f16 v105, v39, 0xb482, v66
	v_fmac_f16_e32 v66, 0x3482, v39
	v_fmamk_f16 v106, v39, 0xbbeb, v67
	v_fmac_f16_e32 v67, 0x3beb, v39
	v_fmamk_f16 v107, v39, 0xb853, v38
	v_fmac_f16_e32 v38, 0x3853, v39
	v_fmamk_f16 v39, v41, 0xb08e, v68
	v_fma_f16 v68, v41, 0xb08e, -v68
	v_fmamk_f16 v108, v41, 0xbbad, v69
	v_fma_f16 v69, v41, 0xbbad, -v69
	v_fmamk_f16 v109, v41, 0x36a6, v70
	v_fma_f16 v70, v41, 0x36a6, -v70
	v_fmamk_f16 v110, v41, 0x3abb, v71
	v_fma_f16 v71, v41, 0x3abb, -v71
	v_fmamk_f16 v111, v41, 0xb93d, v40
	v_fma_f16 v40, v41, 0xb93d, -v40
	v_fmamk_f16 v31, v43, 0x3beb, v72
	v_fmac_f16_e32 v72, 0xbbeb, v43
	v_fmamk_f16 v41, v43, 0xb482, v73
	v_fmac_f16_e32 v73, 0x3482, v43
	v_fmamk_f16 v55, v43, 0xbb47, v74
	v_fmac_f16_e32 v74, 0x3b47, v43
	v_fmamk_f16 v112, v43, 0x3853, v75
	v_fmac_f16_e32 v75, 0xb853, v43
	v_fmamk_f16 v113, v43, 0x3a0c, v42
	v_fmac_f16_e32 v42, 0xba0c, v43
	;; [unrolled: 20-line block ×3, first 2 shown]
	v_fmamk_f16 v47, v49, 0xbbad, v84
	v_fma_f16 v84, v49, 0xbbad, -v84
	v_fmamk_f16 v122, v49, 0x3abb, v85
	v_fma_f16 v85, v49, 0x3abb, -v85
	;; [unrolled: 2-line block ×3, first 2 shown]
	v_add_f16_e32 v91, v91, v10
	v_add_f16_sdwa v92, v92, v10 dst_sel:DWORD dst_unused:UNUSED_PAD src0_sel:DWORD src1_sel:WORD_1
	v_add_f16_e32 v52, v52, v10
	v_add_f16_sdwa v54, v54, v10 dst_sel:DWORD dst_unused:UNUSED_PAD src0_sel:DWORD src1_sel:WORD_1
	;; [unrolled: 2-line block ×10, first 2 shown]
	v_fmamk_f16 v26, v49, 0x36a6, v87
	v_fma_f16 v87, v49, 0x36a6, -v87
	v_fmamk_f16 v124, v49, 0xb08e, v48
	v_fma_f16 v48, v49, 0xb08e, -v48
	v_mul_f16_e32 v49, 0x36a6, v50
	v_mul_f16_e32 v50, 0xb08e, v50
	v_mul_u32_u24_e32 v30, 10, v3
	v_add_f16_e32 v21, v24, v21
	v_add_f16_e32 v23, v25, v23
	v_fmamk_f16 v28, v51, 0x3482, v88
	v_fmac_f16_e32 v88, 0xb482, v51
	v_fmamk_f16 v29, v51, 0xb853, v89
	v_fmac_f16_e32 v89, 0x3853, v51
	;; [unrolled: 2-line block ×5, first 2 shown]
	v_add_f16_e32 v27, v35, v91
	v_lshlrev_b32_e32 v51, 2, v30
	v_add_f16_e32 v30, v37, v92
	v_add_f16_e32 v35, v62, v52
	;; [unrolled: 1-line block ×86, first 2 shown]
	v_add_f16_sdwa v11, v15, v11 dst_sel:WORD_1 dst_unused:UNUSED_PAD src0_sel:DWORD src1_sel:DWORD
	v_pack_b32_f16 v16, v19, v21
	v_pack_b32_f16 v17, v24, v25
	;; [unrolled: 1-line block ×10, first 2 shown]
	v_or_b32_sdwa v11, v11, v12 dst_sel:DWORD dst_unused:UNUSED_PAD src0_sel:DWORD src1_sel:WORD_0
	ds_write2_b32 v20, v17, v19 offset0:8 offset1:12
	ds_write2_b32 v20, v21, v24 offset0:16 offset1:20
	;; [unrolled: 1-line block ×4, first 2 shown]
	ds_write_b32 v20, v22 offset:160
	ds_write2_b32 v20, v11, v16 offset1:4
	s_waitcnt lgkmcnt(0)
	s_barrier
	buffer_gl0_inv
	s_clause 0x2
	global_load_dwordx4 v[30:33], v51, s[12:13] offset:160
	global_load_dwordx4 v[34:37], v51, s[12:13] offset:176
	global_load_dwordx2 v[38:39], v51, s[12:13] offset:192
	ds_read2_b32 v[40:41], v4 offset0:8 offset1:52
	ds_read2_b32 v[42:43], v4 offset0:96 offset1:140
	ds_read_b32 v15, v0 offset:1760
	ds_read_b32 v17, v8
	ds_read_b32 v20, v13
	ds_read2_b32 v[10:11], v0 offset1:132
	ds_read2_b32 v[22:23], v0 offset0:176 offset1:220
	s_waitcnt vmcnt(0) lgkmcnt(0)
	s_barrier
	buffer_gl0_inv
	v_lshrrev_b32_e32 v29, 16, v40
	v_lshrrev_b32_e32 v46, 16, v43
	;; [unrolled: 1-line block ×10, first 2 shown]
	v_mul_f16_sdwa v51, v30, v25 dst_sel:DWORD dst_unused:UNUSED_PAD src0_sel:WORD_1 src1_sel:DWORD
	v_mul_f16_sdwa v52, v30, v17 dst_sel:DWORD dst_unused:UNUSED_PAD src0_sel:WORD_1 src1_sel:DWORD
	;; [unrolled: 1-line block ×8, first 2 shown]
	v_mul_f16_sdwa v12, v46, v38 dst_sel:DWORD dst_unused:UNUSED_PAD src0_sel:DWORD src1_sel:WORD_1
	v_mul_f16_sdwa v60, v43, v38 dst_sel:DWORD dst_unused:UNUSED_PAD src0_sel:DWORD src1_sel:WORD_1
	;; [unrolled: 1-line block ×3, first 2 shown]
	v_fmac_f16_e32 v51, v30, v17
	v_fma_f16 v30, v30, v25, -v52
	v_mul_f16_sdwa v61, v15, v39 dst_sel:DWORD dst_unused:UNUSED_PAD src0_sel:DWORD src1_sel:WORD_1
	v_mul_f16_sdwa v21, v34, v50 dst_sel:DWORD dst_unused:UNUSED_PAD src0_sel:WORD_1 src1_sel:DWORD
	v_mul_f16_sdwa v56, v34, v23 dst_sel:DWORD dst_unused:UNUSED_PAD src0_sel:WORD_1 src1_sel:DWORD
	v_mul_f16_sdwa v14, v45, v37 dst_sel:DWORD dst_unused:UNUSED_PAD src0_sel:DWORD src1_sel:WORD_1
	v_mul_f16_sdwa v59, v42, v37 dst_sel:DWORD dst_unused:UNUSED_PAD src0_sel:DWORD src1_sel:WORD_1
	v_fmac_f16_e32 v28, v31, v20
	v_fma_f16 v31, v31, v27, -v53
	v_fmac_f16_e32 v26, v32, v11
	v_fma_f16 v27, v32, v48, -v54
	;; [unrolled: 2-line block ×3, first 2 shown]
	v_fmac_f16_e32 v12, v43, v38
	v_fmac_f16_e32 v8, v15, v39
	v_fma_f16 v15, v46, v38, -v60
	v_add_f16_e32 v32, v51, v10
	v_add_f16_sdwa v33, v30, v10 dst_sel:DWORD dst_unused:UNUSED_PAD src0_sel:DWORD src1_sel:WORD_1
	v_mul_f16_sdwa v19, v29, v35 dst_sel:DWORD dst_unused:UNUSED_PAD src0_sel:DWORD src1_sel:WORD_1
	v_mul_f16_sdwa v57, v40, v35 dst_sel:DWORD dst_unused:UNUSED_PAD src0_sel:DWORD src1_sel:WORD_1
	;; [unrolled: 1-line block ×4, first 2 shown]
	v_fma_f16 v11, v47, v39, -v61
	v_fmac_f16_e32 v21, v34, v23
	v_fma_f16 v23, v34, v50, -v56
	v_fmac_f16_e32 v14, v42, v37
	v_fma_f16 v17, v45, v37, -v59
	v_add_f16_e32 v34, v28, v12
	v_sub_f16_e32 v37, v31, v15
	v_add_f16_e32 v38, v31, v15
	v_sub_f16_e32 v39, v28, v12
	v_add_f16_e32 v31, v33, v31
	v_add_f16_e32 v28, v32, v28
	v_fmac_f16_e32 v19, v40, v35
	v_fma_f16 v22, v29, v35, -v57
	v_fmac_f16_e32 v16, v41, v36
	v_fma_f16 v20, v44, v36, -v58
	v_sub_f16_e32 v36, v30, v11
	v_add_f16_e32 v35, v30, v11
	v_sub_f16_e32 v40, v27, v17
	v_add_f16_e32 v41, v26, v14
	v_add_f16_e32 v42, v27, v17
	v_sub_f16_e32 v43, v26, v14
	v_add_f16_e32 v27, v31, v27
	v_add_f16_e32 v26, v28, v26
	;; [unrolled: 1-line block ×3, first 2 shown]
	v_sub_f16_e32 v30, v51, v8
	v_sub_f16_e32 v44, v25, v20
	v_add_f16_e32 v46, v25, v20
	v_sub_f16_e32 v48, v23, v22
	v_mul_f16_e32 v52, 0xb853, v36
	v_mul_f16_e32 v53, 0x3abb, v35
	v_mul_f16_e32 v54, 0xbb47, v36
	v_mul_f16_e32 v55, 0x36a6, v35
	v_mul_f16_e32 v56, 0xbbeb, v36
	v_mul_f16_e32 v57, 0xb08e, v35
	v_mul_f16_e32 v58, 0xba0c, v36
	v_mul_f16_e32 v59, 0xb93d, v35
	v_mul_f16_e32 v36, 0xb482, v36
	v_mul_f16_e32 v35, 0xbbad, v35
	v_add_f16_e32 v45, v24, v16
	v_sub_f16_e32 v47, v24, v16
	v_add_f16_e32 v24, v26, v24
	v_add_f16_e32 v25, v27, v25
	;; [unrolled: 1-line block ×4, first 2 shown]
	v_mul_f16_e32 v60, 0xbb47, v37
	v_mul_f16_e32 v61, 0xba0c, v37
	;; [unrolled: 1-line block ×35, first 2 shown]
	v_fmamk_f16 v89, v29, 0x3abb, v52
	v_fmamk_f16 v90, v30, 0x3853, v53
	v_fma_f16 v52, v29, 0x3abb, -v52
	v_fmac_f16_e32 v53, 0xb853, v30
	v_fmamk_f16 v91, v29, 0x36a6, v54
	v_fmamk_f16 v92, v30, 0x3b47, v55
	v_fma_f16 v54, v29, 0x36a6, -v54
	v_fmac_f16_e32 v55, 0xbb47, v30
	;; [unrolled: 4-line block ×5, first 2 shown]
	v_sub_f16_e32 v51, v21, v19
	v_add_f16_e32 v21, v24, v21
	v_add_f16_e32 v23, v25, v23
	v_mul_f16_e32 v86, 0xbbad, v50
	v_mul_f16_e32 v87, 0x3abb, v50
	;; [unrolled: 1-line block ×3, first 2 shown]
	v_fmamk_f16 v30, v34, 0x36a6, v60
	v_fma_f16 v36, v34, 0x36a6, -v60
	v_fmamk_f16 v60, v34, 0xb93d, v61
	v_fma_f16 v61, v34, 0xb93d, -v61
	v_fmamk_f16 v99, v34, 0xbbad, v62
	v_fma_f16 v62, v34, 0xbbad, -v62
	v_fmamk_f16 v100, v34, 0xb08e, v63
	v_fma_f16 v63, v34, 0xb08e, -v63
	v_fmamk_f16 v101, v34, 0x3abb, v37
	v_fma_f16 v34, v34, 0x3abb, -v37
	v_fmamk_f16 v37, v39, 0x3b47, v32
	v_fmac_f16_e32 v32, 0xbb47, v39
	v_fmamk_f16 v102, v39, 0x3a0c, v33
	v_fmac_f16_e32 v33, 0xba0c, v39
	v_fmamk_f16 v103, v39, 0xb482, v64
	v_fmac_f16_e32 v64, 0x3482, v39
	v_fmamk_f16 v104, v39, 0xbbeb, v65
	v_fmac_f16_e32 v65, 0x3beb, v39
	v_fmamk_f16 v105, v39, 0xb853, v38
	v_fmac_f16_e32 v38, 0x3853, v39
	v_fmamk_f16 v39, v41, 0xb08e, v66
	v_fma_f16 v66, v41, 0xb08e, -v66
	v_fmamk_f16 v106, v41, 0xbbad, v67
	v_fma_f16 v67, v41, 0xbbad, -v67
	v_fmamk_f16 v107, v41, 0x36a6, v68
	v_fma_f16 v68, v41, 0x36a6, -v68
	v_fmamk_f16 v108, v41, 0x3abb, v69
	v_fma_f16 v69, v41, 0x3abb, -v69
	v_fmamk_f16 v109, v41, 0xb93d, v40
	v_fma_f16 v40, v41, 0xb93d, -v40
	v_fmamk_f16 v28, v43, 0x3beb, v70
	v_fmac_f16_e32 v70, 0xbbeb, v43
	v_fmamk_f16 v31, v43, 0xb482, v71
	v_fmac_f16_e32 v71, 0x3482, v43
	v_fmamk_f16 v41, v43, 0xbb47, v72
	v_fmac_f16_e32 v72, 0x3b47, v43
	v_fmamk_f16 v110, v43, 0x3853, v73
	v_fmac_f16_e32 v73, 0xb853, v43
	v_fmamk_f16 v111, v43, 0x3a0c, v42
	v_fmac_f16_e32 v42, 0xba0c, v43
	v_fmamk_f16 v43, v45, 0xb93d, v74
	v_fma_f16 v74, v45, 0xb93d, -v74
	v_fmamk_f16 v112, v45, 0xb08e, v75
	v_fma_f16 v75, v45, 0xb08e, -v75
	v_fmamk_f16 v113, v45, 0x3abb, v76
	v_fma_f16 v76, v45, 0x3abb, -v76
	v_fmamk_f16 v114, v45, 0xbbad, v77
	v_fma_f16 v77, v45, 0xbbad, -v77
	v_fmamk_f16 v115, v45, 0x36a6, v44
	v_fma_f16 v44, v45, 0x36a6, -v44
	v_fmamk_f16 v45, v47, 0x3a0c, v78
	v_fmac_f16_e32 v78, 0xba0c, v47
	v_fmamk_f16 v116, v47, 0xbbeb, v79
	v_fmac_f16_e32 v79, 0x3beb, v47
	v_fmamk_f16 v117, v47, 0x3853, v80
	v_fmac_f16_e32 v80, 0xb853, v47
	v_fmamk_f16 v118, v47, 0x3482, v81
	v_fmac_f16_e32 v81, 0xb482, v47
	v_fmamk_f16 v119, v47, 0xbb47, v46
	v_fmac_f16_e32 v46, 0x3b47, v47
	v_fmamk_f16 v47, v49, 0xbbad, v82
	v_fma_f16 v82, v49, 0xbbad, -v82
	v_fmamk_f16 v120, v49, 0x3abb, v83
	v_fma_f16 v83, v49, 0x3abb, -v83
	;; [unrolled: 2-line block ×5, first 2 shown]
	v_mul_f16_e32 v49, 0x36a6, v50
	v_mul_f16_e32 v50, 0xb08e, v50
	v_add_f16_e32 v89, v89, v10
	v_add_f16_sdwa v90, v90, v10 dst_sel:DWORD dst_unused:UNUSED_PAD src0_sel:DWORD src1_sel:WORD_1
	v_add_f16_e32 v52, v52, v10
	v_add_f16_sdwa v53, v53, v10 dst_sel:DWORD dst_unused:UNUSED_PAD src0_sel:DWORD src1_sel:WORD_1
	;; [unrolled: 2-line block ×10, first 2 shown]
	v_add_f16_e32 v19, v21, v19
	v_add_f16_e32 v21, v23, v22
	v_fmamk_f16 v35, v51, 0x3482, v86
	v_fmac_f16_e32 v86, 0xb482, v51
	v_fmamk_f16 v124, v51, 0xb853, v87
	v_fmac_f16_e32 v87, 0x3853, v51
	;; [unrolled: 2-line block ×5, first 2 shown]
	v_add_f16_e32 v24, v30, v89
	v_add_f16_e32 v25, v37, v90
	v_add_f16_e32 v26, v36, v52
	v_add_f16_e32 v27, v32, v53
	v_add_f16_e32 v30, v60, v91
	v_add_f16_e32 v32, v102, v92
	v_add_f16_e32 v36, v61, v54
	v_add_f16_e32 v33, v33, v55
	v_add_f16_e32 v37, v99, v93
	v_add_f16_e32 v51, v103, v94
	v_add_f16_e32 v52, v62, v56
	v_add_f16_e32 v53, v64, v57
	v_add_f16_e32 v54, v100, v95
	v_add_f16_e32 v55, v104, v96
	v_add_f16_e32 v56, v63, v58
	v_add_f16_e32 v57, v65, v59
	v_add_f16_e32 v58, v101, v97
	v_add_f16_e32 v59, v105, v98
	v_add_f16_e32 v29, v34, v29
	v_add_f16_e32 v10, v38, v10
	v_add_f16_e32 v16, v19, v16
	v_add_f16_e32 v19, v21, v20
	v_add_f16_e32 v22, v39, v24
	v_add_f16_e32 v23, v28, v25
	v_add_f16_e32 v24, v66, v26
	v_add_f16_e32 v25, v70, v27
	v_add_f16_e32 v26, v106, v30
	v_add_f16_e32 v27, v31, v32
	v_add_f16_e32 v28, v67, v36
	v_add_f16_e32 v30, v71, v33
	v_add_f16_e32 v31, v107, v37
	v_add_f16_e32 v32, v41, v51
	v_add_f16_e32 v33, v68, v52
	v_add_f16_e32 v34, v72, v53
	v_add_f16_e32 v36, v108, v54
	v_add_f16_e32 v37, v110, v55
	v_add_f16_e32 v38, v69, v56
	v_add_f16_e32 v39, v73, v57
	v_add_f16_e32 v41, v109, v58
	v_add_f16_e32 v51, v111, v59
	v_add_f16_e32 v29, v40, v29
	v_add_f16_e32 v10, v42, v10
	v_add_f16_e32 v14, v16, v14
	v_add_f16_e32 v16, v19, v17
	v_add_f16_e32 v20, v43, v22
	v_add_f16_e32 v21, v45, v23
	v_add_f16_e32 v22, v74, v24
	v_add_f16_e32 v23, v78, v25
	v_add_f16_e32 v24, v112, v26
	v_add_f16_e32 v25, v116, v27
	v_add_f16_e32 v26, v75, v28
	v_add_f16_e32 v27, v79, v30
	v_add_f16_e32 v28, v113, v31
	v_add_f16_e32 v30, v117, v32
	v_add_f16_e32 v31, v76, v33
	v_add_f16_e32 v32, v80, v34
	v_add_f16_e32 v33, v114, v36
	v_add_f16_e32 v34, v118, v37
	v_add_f16_e32 v36, v77, v38
	v_add_f16_e32 v37, v81, v39
	v_add_f16_e32 v38, v115, v41
	v_add_f16_e32 v39, v119, v51
	v_add_f16_e32 v29, v44, v29
	v_add_f16_e32 v10, v46, v10
	v_add_f16_e32 v12, v14, v12
	v_add_f16_e32 v14, v16, v15
	v_add_f16_e32 v17, v47, v20
	v_add_f16_e32 v19, v35, v21
	v_add_f16_e32 v20, v82, v22
	v_add_f16_e32 v21, v86, v23
	v_add_f16_e32 v22, v120, v24
	v_add_f16_e32 v23, v124, v25
	v_add_f16_e32 v24, v83, v26
	v_add_f16_e32 v25, v87, v27
	v_add_f16_e32 v26, v121, v28
	v_add_f16_e32 v27, v125, v30
	v_add_f16_e32 v28, v84, v31
	v_add_f16_e32 v30, v88, v32
	v_add_f16_e32 v31, v122, v33
	v_add_f16_e32 v32, v126, v34
	v_add_f16_e32 v33, v85, v36
	v_add_f16_e32 v35, v123, v38
	v_add_f16_e32 v36, v127, v39
	v_add_f16_e32 v34, v49, v37
	v_add_f16_e32 v29, v48, v29
	v_add_f16_e32 v10, v50, v10
	v_add_f16_e32 v8, v12, v8
	v_add_f16_sdwa v11, v14, v11 dst_sel:WORD_1 dst_unused:UNUSED_PAD src0_sel:DWORD src1_sel:DWORD
	v_pack_b32_f16 v15, v17, v19
	v_pack_b32_f16 v16, v22, v23
	;; [unrolled: 1-line block ×10, first 2 shown]
	v_or_b32_sdwa v8, v11, v8 dst_sel:DWORD dst_unused:UNUSED_PAD src0_sel:DWORD src1_sel:WORD_0
	ds_write2_b32 v0, v16, v17 offset0:88 offset1:132
	ds_write2_b32 v0, v19, v22 offset0:176 offset1:220
	;; [unrolled: 1-line block ×4, first 2 shown]
	ds_write_b32 v0, v20 offset:1760
	ds_write2_b32 v0, v8, v15 offset1:44
	s_waitcnt lgkmcnt(0)
	s_barrier
	buffer_gl0_inv
	ds_read_b32 v8, v0
	v_lshlrev_b32_e32 v4, 2, v3
                                        ; implicit-def: $vgpr17
                                        ; implicit-def: $vgpr16
                                        ; implicit-def: $vgpr15
                                        ; implicit-def: $vgpr11_vgpr12
	v_sub_nc_u32_e32 v14, 0, v4
	v_cmpx_ne_u32_e32 0, v3
	s_xor_b32 s1, exec_lo, s1
	s_cbranch_execz .LBB0_17
; %bb.16:
	v_mov_b32_e32 v4, 0
	v_lshlrev_b64 v[10:11], 2, v[3:4]
	v_add_co_u32 v10, s0, s12, v10
	v_add_co_ci_u32_e64 v11, s0, s13, v11, s0
	global_load_dword v10, v[10:11], off offset:1920
	ds_read_b32 v11, v14 offset:1936
	s_waitcnt lgkmcnt(0)
	v_sub_f16_e32 v12, v8, v11
	v_add_f16_sdwa v15, v11, v8 dst_sel:DWORD dst_unused:UNUSED_PAD src0_sel:WORD_1 src1_sel:WORD_1
	v_sub_f16_sdwa v16, v8, v11 dst_sel:DWORD dst_unused:UNUSED_PAD src0_sel:WORD_1 src1_sel:WORD_1
	v_add_f16_e32 v8, v11, v8
	v_mul_f16_e32 v12, 0.5, v12
	v_mul_f16_e32 v11, 0.5, v15
	;; [unrolled: 1-line block ×3, first 2 shown]
	s_waitcnt vmcnt(0)
	v_lshrrev_b32_e32 v17, 16, v10
	v_mul_f16_e32 v16, v17, v12
	v_fma_f16 v19, v11, v17, v15
	v_fma_f16 v17, v11, v17, -v15
	v_fma_f16 v20, 0.5, v8, v16
	v_fma_f16 v8, v8, 0.5, -v16
	v_fma_f16 v15, -v10, v12, v19
	v_fma_f16 v17, -v10, v12, v17
	v_fmac_f16_e32 v20, v10, v11
	v_fma_f16 v16, -v10, v11, v8
	v_mov_b32_e32 v12, v4
	v_mov_b32_e32 v11, v3
                                        ; implicit-def: $vgpr8
	ds_write_b16 v0, v20
.LBB0_17:
	s_or_saveexec_b32 s0, s1
	v_mul_i32_i24_e32 v4, -12, v7
	s_xor_b32 exec_lo, exec_lo, s0
	s_cbranch_execz .LBB0_19
; %bb.18:
	v_mov_b32_e32 v15, 0
	v_mov_b32_e32 v11, 0
	s_waitcnt lgkmcnt(0)
	v_add_f16_sdwa v19, v8, v8 dst_sel:DWORD dst_unused:UNUSED_PAD src0_sel:WORD_1 src1_sel:DWORD
	v_sub_f16_sdwa v16, v8, v8 dst_sel:DWORD dst_unused:UNUSED_PAD src0_sel:DWORD src1_sel:WORD_1
	v_mov_b32_e32 v12, 0
	ds_read_u16 v10, v15 offset:970
	v_mov_b32_e32 v17, 0
	s_waitcnt lgkmcnt(0)
	v_xor_b32_e32 v8, 0x8000, v10
	ds_write_b16 v0, v19
	ds_write_b16 v15, v8 offset:970
.LBB0_19:
	s_or_b32 exec_lo, exec_lo, s0
	s_waitcnt lgkmcnt(0)
	v_mov_b32_e32 v8, 0
	v_add_nc_u32_e32 v4, v18, v4
	v_lshlrev_b64 v[19:20], 2, v[7:8]
	v_mov_b32_e32 v10, v8
	v_lshlrev_b64 v[7:8], 2, v[9:10]
	v_add_co_u32 v19, s0, s12, v19
	v_add_co_ci_u32_e64 v20, s0, s13, v20, s0
	v_add_co_u32 v7, s0, s12, v7
	global_load_dword v19, v[19:20], off offset:1920
	v_add_co_ci_u32_e64 v8, s0, s13, v8, s0
	s_add_u32 s0, s12, 0x780
	s_addc_u32 s1, s13, 0
	global_load_dword v9, v[7:8], off offset:1920
	v_lshlrev_b64 v[7:8], 2, v[11:12]
	v_perm_b32 v12, v17, v16, 0x5040100
	v_add_co_u32 v7, s0, s0, v7
	v_add_co_ci_u32_e64 v8, s0, s1, v8, s0
	s_clause 0x1
	global_load_dword v10, v[7:8], off offset:528
	global_load_dword v11, v[7:8], off offset:704
	ds_write_b16 v0, v15 offset:2
	ds_write_b32 v14, v12 offset:1936
	ds_read_b32 v15, v14 offset:1760
	ds_read_b32 v12, v4
	s_mov_b32 s1, exec_lo
	s_waitcnt lgkmcnt(0)
	v_pk_add_f16 v16, v12, v15 neg_lo:[0,1] neg_hi:[0,1]
	v_pk_add_f16 v12, v12, v15
	v_bfi_b32 v15, 0xffff, v16, v12
	v_bfi_b32 v12, 0xffff, v12, v16
	v_pk_mul_f16 v15, v15, 0.5 op_sel_hi:[1,0]
	v_pk_mul_f16 v12, v12, 0.5 op_sel_hi:[1,0]
	s_waitcnt vmcnt(3)
	v_pk_fma_f16 v16, v19, v15, v12 op_sel:[1,0,0]
	v_pk_mul_f16 v17, v19, v15 op_sel_hi:[0,1]
	v_pk_fma_f16 v18, v19, v15, v12 op_sel:[1,0,0] neg_lo:[1,0,0] neg_hi:[1,0,0]
	v_pk_fma_f16 v12, v19, v15, v12 op_sel:[1,0,0] neg_lo:[0,0,1] neg_hi:[0,0,1]
	v_pk_add_f16 v15, v16, v17 op_sel:[0,1] op_sel_hi:[1,0]
	v_pk_add_f16 v16, v16, v17 op_sel:[0,1] op_sel_hi:[1,0] neg_lo:[0,1] neg_hi:[0,1]
	v_pk_add_f16 v18, v18, v17 op_sel:[0,1] op_sel_hi:[1,0] neg_lo:[0,1] neg_hi:[0,1]
	;; [unrolled: 1-line block ×3, first 2 shown]
	v_bfi_b32 v15, 0xffff, v15, v16
	v_bfi_b32 v12, 0xffff, v18, v12
	ds_write_b32 v4, v15
	ds_write_b32 v14, v12 offset:1760
	ds_read_b32 v4, v13
	ds_read_b32 v12, v14 offset:1584
	s_waitcnt lgkmcnt(0)
	v_pk_add_f16 v15, v4, v12 neg_lo:[0,1] neg_hi:[0,1]
	v_pk_add_f16 v4, v4, v12
	v_bfi_b32 v12, 0xffff, v15, v4
	v_bfi_b32 v4, 0xffff, v4, v15
	v_pk_mul_f16 v12, v12, 0.5 op_sel_hi:[1,0]
	v_pk_mul_f16 v4, v4, 0.5 op_sel_hi:[1,0]
	s_waitcnt vmcnt(2)
	v_pk_mul_f16 v16, v9, v12 op_sel_hi:[0,1]
	v_pk_fma_f16 v15, v9, v12, v4 op_sel:[1,0,0]
	v_pk_fma_f16 v17, v9, v12, v4 op_sel:[1,0,0] neg_lo:[1,0,0] neg_hi:[1,0,0]
	v_pk_fma_f16 v4, v9, v12, v4 op_sel:[1,0,0] neg_lo:[0,0,1] neg_hi:[0,0,1]
	v_pk_add_f16 v9, v15, v16 op_sel:[0,1] op_sel_hi:[1,0]
	v_pk_add_f16 v12, v15, v16 op_sel:[0,1] op_sel_hi:[1,0] neg_lo:[0,1] neg_hi:[0,1]
	v_pk_add_f16 v15, v17, v16 op_sel:[0,1] op_sel_hi:[1,0] neg_lo:[0,1] neg_hi:[0,1]
	;; [unrolled: 1-line block ×3, first 2 shown]
	v_bfi_b32 v9, 0xffff, v9, v12
	v_bfi_b32 v4, 0xffff, v15, v4
	ds_write_b32 v13, v9
	ds_write_b32 v14, v4 offset:1584
	ds_read_b32 v4, v0 offset:528
	ds_read_b32 v9, v14 offset:1408
	s_waitcnt lgkmcnt(0)
	v_pk_add_f16 v12, v4, v9 neg_lo:[0,1] neg_hi:[0,1]
	v_pk_add_f16 v4, v4, v9
	v_bfi_b32 v9, 0xffff, v12, v4
	v_bfi_b32 v4, 0xffff, v4, v12
	v_pk_mul_f16 v9, v9, 0.5 op_sel_hi:[1,0]
	v_pk_mul_f16 v4, v4, 0.5 op_sel_hi:[1,0]
	s_waitcnt vmcnt(1)
	v_pk_mul_f16 v13, v10, v9 op_sel_hi:[0,1]
	v_pk_fma_f16 v12, v10, v9, v4 op_sel:[1,0,0]
	v_pk_fma_f16 v15, v10, v9, v4 op_sel:[1,0,0] neg_lo:[1,0,0] neg_hi:[1,0,0]
	v_pk_fma_f16 v4, v10, v9, v4 op_sel:[1,0,0] neg_lo:[0,0,1] neg_hi:[0,0,1]
	v_pk_add_f16 v9, v12, v13 op_sel:[0,1] op_sel_hi:[1,0]
	v_pk_add_f16 v10, v12, v13 op_sel:[0,1] op_sel_hi:[1,0] neg_lo:[0,1] neg_hi:[0,1]
	v_pk_add_f16 v12, v15, v13 op_sel:[0,1] op_sel_hi:[1,0] neg_lo:[0,1] neg_hi:[0,1]
	;; [unrolled: 1-line block ×3, first 2 shown]
	v_bfi_b32 v9, 0xffff, v9, v10
	v_bfi_b32 v4, 0xffff, v12, v4
	ds_write_b32 v0, v9 offset:528
	ds_write_b32 v14, v4 offset:1408
	ds_read_b32 v4, v0 offset:704
	ds_read_b32 v9, v14 offset:1232
	s_waitcnt lgkmcnt(0)
	v_pk_add_f16 v10, v4, v9 neg_lo:[0,1] neg_hi:[0,1]
	v_pk_add_f16 v4, v4, v9
	v_bfi_b32 v9, 0xffff, v10, v4
	v_bfi_b32 v4, 0xffff, v4, v10
	v_pk_mul_f16 v9, v9, 0.5 op_sel_hi:[1,0]
	v_pk_mul_f16 v4, v4, 0.5 op_sel_hi:[1,0]
	s_waitcnt vmcnt(0)
	v_pk_mul_f16 v12, v11, v9 op_sel_hi:[0,1]
	v_pk_fma_f16 v10, v11, v9, v4 op_sel:[1,0,0]
	v_pk_fma_f16 v13, v11, v9, v4 op_sel:[1,0,0] neg_lo:[1,0,0] neg_hi:[1,0,0]
	v_pk_fma_f16 v4, v11, v9, v4 op_sel:[1,0,0] neg_lo:[0,0,1] neg_hi:[0,0,1]
	v_pk_add_f16 v9, v10, v12 op_sel:[0,1] op_sel_hi:[1,0]
	v_pk_add_f16 v10, v10, v12 op_sel:[0,1] op_sel_hi:[1,0] neg_lo:[0,1] neg_hi:[0,1]
	v_pk_add_f16 v11, v13, v12 op_sel:[0,1] op_sel_hi:[1,0] neg_lo:[0,1] neg_hi:[0,1]
	;; [unrolled: 1-line block ×3, first 2 shown]
	v_bfi_b32 v9, 0xffff, v9, v10
	v_bfi_b32 v4, 0xffff, v11, v4
	ds_write_b32 v0, v9 offset:704
	ds_write_b32 v14, v4 offset:1232
	v_cmpx_gt_u32_e32 22, v3
	s_cbranch_execz .LBB0_21
; %bb.20:
	global_load_dword v4, v[7:8], off offset:880
	ds_read_b32 v7, v0 offset:880
	ds_read_b32 v8, v14 offset:1056
	s_waitcnt lgkmcnt(0)
	v_pk_add_f16 v9, v7, v8 neg_lo:[0,1] neg_hi:[0,1]
	v_pk_add_f16 v7, v7, v8
	v_bfi_b32 v8, 0xffff, v9, v7
	v_bfi_b32 v7, 0xffff, v7, v9
	v_pk_mul_f16 v8, v8, 0.5 op_sel_hi:[1,0]
	v_pk_mul_f16 v7, v7, 0.5 op_sel_hi:[1,0]
	s_waitcnt vmcnt(0)
	v_pk_fma_f16 v9, v4, v8, v7 op_sel:[1,0,0]
	v_pk_mul_f16 v10, v4, v8 op_sel_hi:[0,1]
	v_pk_fma_f16 v11, v4, v8, v7 op_sel:[1,0,0] neg_lo:[1,0,0] neg_hi:[1,0,0]
	v_pk_fma_f16 v4, v4, v8, v7 op_sel:[1,0,0] neg_lo:[0,0,1] neg_hi:[0,0,1]
	v_pk_add_f16 v7, v9, v10 op_sel:[0,1] op_sel_hi:[1,0]
	v_pk_add_f16 v8, v9, v10 op_sel:[0,1] op_sel_hi:[1,0] neg_lo:[0,1] neg_hi:[0,1]
	v_pk_add_f16 v9, v11, v10 op_sel:[0,1] op_sel_hi:[1,0] neg_lo:[0,1] neg_hi:[0,1]
	;; [unrolled: 1-line block ×3, first 2 shown]
	v_bfi_b32 v7, 0xffff, v7, v8
	v_bfi_b32 v4, 0xffff, v9, v4
	ds_write_b32 v0, v7 offset:880
	ds_write_b32 v14, v4 offset:1056
.LBB0_21:
	s_or_b32 exec_lo, exec_lo, s1
	s_waitcnt lgkmcnt(0)
	s_barrier
	buffer_gl0_inv
	s_and_saveexec_b32 s0, vcc_lo
	s_cbranch_execz .LBB0_24
; %bb.22:
	v_mul_lo_u32 v0, s3, v5
	v_mul_lo_u32 v7, s2, v6
	v_mad_u64_u32 v[5:6], null, s2, v5, 0
	v_lshl_add_u32 v21, v3, 2, 0
	v_mov_b32_e32 v4, 0
	v_add_nc_u32_e32 v9, 0x58, v3
	v_add_nc_u32_e32 v19, 0x134, v3
	ds_read2_b32 v[11:12], v21 offset1:44
	v_add3_u32 v6, v6, v7, v0
	v_lshlrev_b64 v[0:1], 2, v[1:2]
	v_add_nc_u32_e32 v7, 44, v3
	v_mov_b32_e32 v8, v4
	ds_read2_b32 v[15:16], v21 offset0:88 offset1:132
	v_lshlrev_b64 v[5:6], 2, v[5:6]
	v_lshlrev_b64 v[13:14], 2, v[3:4]
	v_mov_b32_e32 v10, v4
	v_mov_b32_e32 v20, v4
	v_add_co_u32 v2, vcc_lo, s10, v5
	v_add_co_ci_u32_e32 v17, vcc_lo, s11, v6, vcc_lo
	v_lshlrev_b64 v[5:6], 2, v[7:8]
	v_add_co_u32 v0, vcc_lo, v2, v0
	v_add_co_ci_u32_e32 v1, vcc_lo, v17, v1, vcc_lo
	v_lshlrev_b64 v[7:8], 2, v[9:10]
	v_add_co_u32 v9, vcc_lo, v0, v13
	v_add_co_ci_u32_e32 v10, vcc_lo, v1, v14, vcc_lo
	v_add_co_u32 v5, vcc_lo, v0, v5
	v_add_co_ci_u32_e32 v6, vcc_lo, v1, v6, vcc_lo
	;; [unrolled: 2-line block ×3, first 2 shown]
	v_add_nc_u32_e32 v13, 0x84, v3
	v_mov_b32_e32 v14, v4
	v_add_nc_u32_e32 v2, 0x400, v21
	s_waitcnt lgkmcnt(1)
	global_store_dword v[9:10], v11, off
	global_store_dword v[5:6], v12, off
	s_waitcnt lgkmcnt(0)
	global_store_dword v[7:8], v15, off
	v_add_nc_u32_e32 v7, 0xb0, v3
	v_mov_b32_e32 v8, v4
	v_lshlrev_b64 v[5:6], 2, v[13:14]
	ds_read2_b32 v[11:12], v21 offset0:176 offset1:220
	v_add_nc_u32_e32 v9, 0xdc, v3
	v_mov_b32_e32 v10, v4
	ds_read2_b32 v[17:18], v2 offset0:8 offset1:52
	v_lshlrev_b64 v[7:8], 2, v[7:8]
	v_add_nc_u32_e32 v13, 0x108, v3
	v_add_co_u32 v5, vcc_lo, v0, v5
	v_lshlrev_b64 v[9:10], 2, v[9:10]
	v_add_co_ci_u32_e32 v6, vcc_lo, v1, v6, vcc_lo
	v_add_co_u32 v7, vcc_lo, v0, v7
	v_lshlrev_b64 v[13:14], 2, v[13:14]
	v_add_co_ci_u32_e32 v8, vcc_lo, v1, v8, vcc_lo
	v_add_co_u32 v9, vcc_lo, v0, v9
	v_add_co_ci_u32_e32 v10, vcc_lo, v1, v10, vcc_lo
	v_add_co_u32 v13, vcc_lo, v0, v13
	v_add_co_ci_u32_e32 v14, vcc_lo, v1, v14, vcc_lo
	global_store_dword v[5:6], v16, off
	s_waitcnt lgkmcnt(1)
	global_store_dword v[7:8], v11, off
	global_store_dword v[9:10], v12, off
	s_waitcnt lgkmcnt(0)
	global_store_dword v[13:14], v17, off
	v_add_nc_u32_e32 v7, 0x160, v3
	v_mov_b32_e32 v8, v4
	v_lshlrev_b64 v[5:6], 2, v[19:20]
	v_add_nc_u32_e32 v9, 0x18c, v3
	v_mov_b32_e32 v10, v4
	ds_read2_b32 v[11:12], v2 offset0:96 offset1:140
	v_lshlrev_b64 v[7:8], 2, v[7:8]
	v_add_nc_u32_e32 v13, 0x1b8, v3
	v_mov_b32_e32 v14, v4
	v_add_co_u32 v5, vcc_lo, v0, v5
	v_lshlrev_b64 v[9:10], 2, v[9:10]
	ds_read_b32 v2, v21 offset:1760
	v_add_co_ci_u32_e32 v6, vcc_lo, v1, v6, vcc_lo
	v_add_co_u32 v7, vcc_lo, v0, v7
	v_lshlrev_b64 v[13:14], 2, v[13:14]
	v_add_co_ci_u32_e32 v8, vcc_lo, v1, v8, vcc_lo
	v_add_co_u32 v9, vcc_lo, v0, v9
	v_add_co_ci_u32_e32 v10, vcc_lo, v1, v10, vcc_lo
	v_add_co_u32 v13, vcc_lo, v0, v13
	v_add_co_ci_u32_e32 v14, vcc_lo, v1, v14, vcc_lo
	v_cmp_eq_u32_e32 vcc_lo, 43, v3
	global_store_dword v[5:6], v18, off
	s_waitcnt lgkmcnt(1)
	global_store_dword v[7:8], v11, off
	global_store_dword v[9:10], v12, off
	s_waitcnt lgkmcnt(0)
	global_store_dword v[13:14], v2, off
	s_and_b32 exec_lo, exec_lo, vcc_lo
	s_cbranch_execz .LBB0_24
; %bb.23:
	ds_read_b32 v2, v4 offset:1936
	s_waitcnt lgkmcnt(0)
	global_store_dword v[0:1], v2, off offset:1936
.LBB0_24:
	s_endpgm
	.section	.rodata,"a",@progbits
	.p2align	6, 0x0
	.amdhsa_kernel fft_rtc_back_len484_factors_4_11_11_wgs_44_tpt_44_half_op_CI_CI_unitstride_sbrr_R2C_dirReg
		.amdhsa_group_segment_fixed_size 0
		.amdhsa_private_segment_fixed_size 0
		.amdhsa_kernarg_size 104
		.amdhsa_user_sgpr_count 6
		.amdhsa_user_sgpr_private_segment_buffer 1
		.amdhsa_user_sgpr_dispatch_ptr 0
		.amdhsa_user_sgpr_queue_ptr 0
		.amdhsa_user_sgpr_kernarg_segment_ptr 1
		.amdhsa_user_sgpr_dispatch_id 0
		.amdhsa_user_sgpr_flat_scratch_init 0
		.amdhsa_user_sgpr_private_segment_size 0
		.amdhsa_wavefront_size32 1
		.amdhsa_uses_dynamic_stack 0
		.amdhsa_system_sgpr_private_segment_wavefront_offset 0
		.amdhsa_system_sgpr_workgroup_id_x 1
		.amdhsa_system_sgpr_workgroup_id_y 0
		.amdhsa_system_sgpr_workgroup_id_z 0
		.amdhsa_system_sgpr_workgroup_info 0
		.amdhsa_system_vgpr_workitem_id 0
		.amdhsa_next_free_vgpr 128
		.amdhsa_next_free_sgpr 27
		.amdhsa_reserve_vcc 1
		.amdhsa_reserve_flat_scratch 0
		.amdhsa_float_round_mode_32 0
		.amdhsa_float_round_mode_16_64 0
		.amdhsa_float_denorm_mode_32 3
		.amdhsa_float_denorm_mode_16_64 3
		.amdhsa_dx10_clamp 1
		.amdhsa_ieee_mode 1
		.amdhsa_fp16_overflow 0
		.amdhsa_workgroup_processor_mode 1
		.amdhsa_memory_ordered 1
		.amdhsa_forward_progress 0
		.amdhsa_shared_vgpr_count 0
		.amdhsa_exception_fp_ieee_invalid_op 0
		.amdhsa_exception_fp_denorm_src 0
		.amdhsa_exception_fp_ieee_div_zero 0
		.amdhsa_exception_fp_ieee_overflow 0
		.amdhsa_exception_fp_ieee_underflow 0
		.amdhsa_exception_fp_ieee_inexact 0
		.amdhsa_exception_int_div_zero 0
	.end_amdhsa_kernel
	.text
.Lfunc_end0:
	.size	fft_rtc_back_len484_factors_4_11_11_wgs_44_tpt_44_half_op_CI_CI_unitstride_sbrr_R2C_dirReg, .Lfunc_end0-fft_rtc_back_len484_factors_4_11_11_wgs_44_tpt_44_half_op_CI_CI_unitstride_sbrr_R2C_dirReg
                                        ; -- End function
	.section	.AMDGPU.csdata,"",@progbits
; Kernel info:
; codeLenInByte = 9144
; NumSgprs: 29
; NumVgprs: 128
; ScratchSize: 0
; MemoryBound: 0
; FloatMode: 240
; IeeeMode: 1
; LDSByteSize: 0 bytes/workgroup (compile time only)
; SGPRBlocks: 3
; VGPRBlocks: 15
; NumSGPRsForWavesPerEU: 29
; NumVGPRsForWavesPerEU: 128
; Occupancy: 8
; WaveLimiterHint : 1
; COMPUTE_PGM_RSRC2:SCRATCH_EN: 0
; COMPUTE_PGM_RSRC2:USER_SGPR: 6
; COMPUTE_PGM_RSRC2:TRAP_HANDLER: 0
; COMPUTE_PGM_RSRC2:TGID_X_EN: 1
; COMPUTE_PGM_RSRC2:TGID_Y_EN: 0
; COMPUTE_PGM_RSRC2:TGID_Z_EN: 0
; COMPUTE_PGM_RSRC2:TIDIG_COMP_CNT: 0
	.text
	.p2alignl 6, 3214868480
	.fill 48, 4, 3214868480
	.type	__hip_cuid_76f0c8d38bdb464b,@object ; @__hip_cuid_76f0c8d38bdb464b
	.section	.bss,"aw",@nobits
	.globl	__hip_cuid_76f0c8d38bdb464b
__hip_cuid_76f0c8d38bdb464b:
	.byte	0                               ; 0x0
	.size	__hip_cuid_76f0c8d38bdb464b, 1

	.ident	"AMD clang version 19.0.0git (https://github.com/RadeonOpenCompute/llvm-project roc-6.4.0 25133 c7fe45cf4b819c5991fe208aaa96edf142730f1d)"
	.section	".note.GNU-stack","",@progbits
	.addrsig
	.addrsig_sym __hip_cuid_76f0c8d38bdb464b
	.amdgpu_metadata
---
amdhsa.kernels:
  - .args:
      - .actual_access:  read_only
        .address_space:  global
        .offset:         0
        .size:           8
        .value_kind:     global_buffer
      - .offset:         8
        .size:           8
        .value_kind:     by_value
      - .actual_access:  read_only
        .address_space:  global
        .offset:         16
        .size:           8
        .value_kind:     global_buffer
      - .actual_access:  read_only
        .address_space:  global
        .offset:         24
        .size:           8
        .value_kind:     global_buffer
      - .actual_access:  read_only
        .address_space:  global
        .offset:         32
        .size:           8
        .value_kind:     global_buffer
      - .offset:         40
        .size:           8
        .value_kind:     by_value
      - .actual_access:  read_only
        .address_space:  global
        .offset:         48
        .size:           8
        .value_kind:     global_buffer
      - .actual_access:  read_only
        .address_space:  global
        .offset:         56
        .size:           8
        .value_kind:     global_buffer
      - .offset:         64
        .size:           4
        .value_kind:     by_value
      - .actual_access:  read_only
        .address_space:  global
        .offset:         72
        .size:           8
        .value_kind:     global_buffer
      - .actual_access:  read_only
        .address_space:  global
        .offset:         80
        .size:           8
        .value_kind:     global_buffer
      - .actual_access:  read_only
        .address_space:  global
        .offset:         88
        .size:           8
        .value_kind:     global_buffer
      - .actual_access:  write_only
        .address_space:  global
        .offset:         96
        .size:           8
        .value_kind:     global_buffer
    .group_segment_fixed_size: 0
    .kernarg_segment_align: 8
    .kernarg_segment_size: 104
    .language:       OpenCL C
    .language_version:
      - 2
      - 0
    .max_flat_workgroup_size: 44
    .name:           fft_rtc_back_len484_factors_4_11_11_wgs_44_tpt_44_half_op_CI_CI_unitstride_sbrr_R2C_dirReg
    .private_segment_fixed_size: 0
    .sgpr_count:     29
    .sgpr_spill_count: 0
    .symbol:         fft_rtc_back_len484_factors_4_11_11_wgs_44_tpt_44_half_op_CI_CI_unitstride_sbrr_R2C_dirReg.kd
    .uniform_work_group_size: 1
    .uses_dynamic_stack: false
    .vgpr_count:     128
    .vgpr_spill_count: 0
    .wavefront_size: 32
    .workgroup_processor_mode: 1
amdhsa.target:   amdgcn-amd-amdhsa--gfx1030
amdhsa.version:
  - 1
  - 2
...

	.end_amdgpu_metadata
